;; amdgpu-corpus repo=ROCm/rocFFT kind=compiled arch=gfx1030 opt=O3
	.text
	.amdgcn_target "amdgcn-amd-amdhsa--gfx1030"
	.amdhsa_code_object_version 6
	.protected	fft_rtc_fwd_len1600_factors_10_16_10_wgs_200_tpt_100_halfLds_dp_ip_CI_unitstride_sbrr_C2R_dirReg ; -- Begin function fft_rtc_fwd_len1600_factors_10_16_10_wgs_200_tpt_100_halfLds_dp_ip_CI_unitstride_sbrr_C2R_dirReg
	.globl	fft_rtc_fwd_len1600_factors_10_16_10_wgs_200_tpt_100_halfLds_dp_ip_CI_unitstride_sbrr_C2R_dirReg
	.p2align	8
	.type	fft_rtc_fwd_len1600_factors_10_16_10_wgs_200_tpt_100_halfLds_dp_ip_CI_unitstride_sbrr_C2R_dirReg,@function
fft_rtc_fwd_len1600_factors_10_16_10_wgs_200_tpt_100_halfLds_dp_ip_CI_unitstride_sbrr_C2R_dirReg: ; @fft_rtc_fwd_len1600_factors_10_16_10_wgs_200_tpt_100_halfLds_dp_ip_CI_unitstride_sbrr_C2R_dirReg
; %bb.0:
	s_clause 0x2
	s_load_dwordx4 s[8:11], s[4:5], 0x0
	s_load_dwordx2 s[2:3], s[4:5], 0x50
	s_load_dwordx2 s[12:13], s[4:5], 0x18
	v_mul_u32_u24_e32 v1, 0x290, v0
	v_mov_b32_e32 v3, 0
	v_lshrrev_b32_e32 v9, 16, v1
	v_mov_b32_e32 v1, 0
	v_mov_b32_e32 v6, v3
	v_mov_b32_e32 v2, 0
	v_lshl_add_u32 v5, s6, 1, v9
	s_waitcnt lgkmcnt(0)
	v_cmp_lt_u64_e64 s0, s[10:11], 2
	s_and_b32 vcc_lo, exec_lo, s0
	s_cbranch_vccnz .LBB0_8
; %bb.1:
	s_load_dwordx2 s[0:1], s[4:5], 0x10
	v_mov_b32_e32 v1, 0
	s_add_u32 s6, s12, 8
	v_mov_b32_e32 v2, 0
	s_addc_u32 s7, s13, 0
	s_mov_b64 s[16:17], 1
	s_waitcnt lgkmcnt(0)
	s_add_u32 s14, s0, 8
	s_addc_u32 s15, s1, 0
.LBB0_2:                                ; =>This Inner Loop Header: Depth=1
	s_load_dwordx2 s[18:19], s[14:15], 0x0
                                        ; implicit-def: $vgpr7_vgpr8
	s_mov_b32 s0, exec_lo
	s_waitcnt lgkmcnt(0)
	v_or_b32_e32 v4, s19, v6
	v_cmpx_ne_u64_e32 0, v[3:4]
	s_xor_b32 s1, exec_lo, s0
	s_cbranch_execz .LBB0_4
; %bb.3:                                ;   in Loop: Header=BB0_2 Depth=1
	v_cvt_f32_u32_e32 v4, s18
	v_cvt_f32_u32_e32 v7, s19
	s_sub_u32 s0, 0, s18
	s_subb_u32 s20, 0, s19
	v_fmac_f32_e32 v4, 0x4f800000, v7
	v_rcp_f32_e32 v4, v4
	v_mul_f32_e32 v4, 0x5f7ffffc, v4
	v_mul_f32_e32 v7, 0x2f800000, v4
	v_trunc_f32_e32 v7, v7
	v_fmac_f32_e32 v4, 0xcf800000, v7
	v_cvt_u32_f32_e32 v7, v7
	v_cvt_u32_f32_e32 v4, v4
	v_mul_lo_u32 v8, s0, v7
	v_mul_hi_u32 v10, s0, v4
	v_mul_lo_u32 v11, s20, v4
	v_add_nc_u32_e32 v8, v10, v8
	v_mul_lo_u32 v10, s0, v4
	v_add_nc_u32_e32 v8, v8, v11
	v_mul_hi_u32 v11, v4, v10
	v_mul_lo_u32 v12, v4, v8
	v_mul_hi_u32 v13, v4, v8
	v_mul_hi_u32 v14, v7, v10
	v_mul_lo_u32 v10, v7, v10
	v_mul_hi_u32 v15, v7, v8
	v_mul_lo_u32 v8, v7, v8
	v_add_co_u32 v11, vcc_lo, v11, v12
	v_add_co_ci_u32_e32 v12, vcc_lo, 0, v13, vcc_lo
	v_add_co_u32 v10, vcc_lo, v11, v10
	v_add_co_ci_u32_e32 v10, vcc_lo, v12, v14, vcc_lo
	v_add_co_ci_u32_e32 v11, vcc_lo, 0, v15, vcc_lo
	v_add_co_u32 v8, vcc_lo, v10, v8
	v_add_co_ci_u32_e32 v10, vcc_lo, 0, v11, vcc_lo
	v_add_co_u32 v4, vcc_lo, v4, v8
	v_add_co_ci_u32_e32 v7, vcc_lo, v7, v10, vcc_lo
	v_mul_hi_u32 v8, s0, v4
	v_mul_lo_u32 v11, s20, v4
	v_mul_lo_u32 v10, s0, v7
	v_add_nc_u32_e32 v8, v8, v10
	v_mul_lo_u32 v10, s0, v4
	v_add_nc_u32_e32 v8, v8, v11
	v_mul_hi_u32 v11, v4, v10
	v_mul_lo_u32 v12, v4, v8
	v_mul_hi_u32 v13, v4, v8
	v_mul_hi_u32 v14, v7, v10
	v_mul_lo_u32 v10, v7, v10
	v_mul_hi_u32 v15, v7, v8
	v_mul_lo_u32 v8, v7, v8
	v_add_co_u32 v11, vcc_lo, v11, v12
	v_add_co_ci_u32_e32 v12, vcc_lo, 0, v13, vcc_lo
	v_add_co_u32 v10, vcc_lo, v11, v10
	v_add_co_ci_u32_e32 v10, vcc_lo, v12, v14, vcc_lo
	v_add_co_ci_u32_e32 v11, vcc_lo, 0, v15, vcc_lo
	v_add_co_u32 v8, vcc_lo, v10, v8
	v_add_co_ci_u32_e32 v10, vcc_lo, 0, v11, vcc_lo
	v_add_co_u32 v4, vcc_lo, v4, v8
	v_add_co_ci_u32_e32 v12, vcc_lo, v7, v10, vcc_lo
	v_mul_hi_u32 v14, v5, v4
	v_mad_u64_u32 v[10:11], null, v6, v4, 0
	v_mad_u64_u32 v[7:8], null, v5, v12, 0
	;; [unrolled: 1-line block ×3, first 2 shown]
	v_add_co_u32 v4, vcc_lo, v14, v7
	v_add_co_ci_u32_e32 v7, vcc_lo, 0, v8, vcc_lo
	v_add_co_u32 v4, vcc_lo, v4, v10
	v_add_co_ci_u32_e32 v4, vcc_lo, v7, v11, vcc_lo
	v_add_co_ci_u32_e32 v7, vcc_lo, 0, v13, vcc_lo
	v_add_co_u32 v4, vcc_lo, v4, v12
	v_add_co_ci_u32_e32 v10, vcc_lo, 0, v7, vcc_lo
	v_mul_lo_u32 v11, s19, v4
	v_mad_u64_u32 v[7:8], null, s18, v4, 0
	v_mul_lo_u32 v12, s18, v10
	v_sub_co_u32 v7, vcc_lo, v5, v7
	v_add3_u32 v8, v8, v12, v11
	v_sub_nc_u32_e32 v11, v6, v8
	v_subrev_co_ci_u32_e64 v11, s0, s19, v11, vcc_lo
	v_add_co_u32 v12, s0, v4, 2
	v_add_co_ci_u32_e64 v13, s0, 0, v10, s0
	v_sub_co_u32 v14, s0, v7, s18
	v_sub_co_ci_u32_e32 v8, vcc_lo, v6, v8, vcc_lo
	v_subrev_co_ci_u32_e64 v11, s0, 0, v11, s0
	v_cmp_le_u32_e32 vcc_lo, s18, v14
	v_cmp_eq_u32_e64 s0, s19, v8
	v_cndmask_b32_e64 v14, 0, -1, vcc_lo
	v_cmp_le_u32_e32 vcc_lo, s19, v11
	v_cndmask_b32_e64 v15, 0, -1, vcc_lo
	v_cmp_le_u32_e32 vcc_lo, s18, v7
	;; [unrolled: 2-line block ×3, first 2 shown]
	v_cndmask_b32_e64 v16, 0, -1, vcc_lo
	v_cmp_eq_u32_e32 vcc_lo, s19, v11
	v_cndmask_b32_e64 v7, v16, v7, s0
	v_cndmask_b32_e32 v11, v15, v14, vcc_lo
	v_add_co_u32 v14, vcc_lo, v4, 1
	v_add_co_ci_u32_e32 v15, vcc_lo, 0, v10, vcc_lo
	v_cmp_ne_u32_e32 vcc_lo, 0, v11
	v_cndmask_b32_e32 v8, v15, v13, vcc_lo
	v_cndmask_b32_e32 v11, v14, v12, vcc_lo
	v_cmp_ne_u32_e32 vcc_lo, 0, v7
	v_cndmask_b32_e32 v8, v10, v8, vcc_lo
	v_cndmask_b32_e32 v7, v4, v11, vcc_lo
.LBB0_4:                                ;   in Loop: Header=BB0_2 Depth=1
	s_andn2_saveexec_b32 s0, s1
	s_cbranch_execz .LBB0_6
; %bb.5:                                ;   in Loop: Header=BB0_2 Depth=1
	v_cvt_f32_u32_e32 v4, s18
	s_sub_i32 s1, 0, s18
	v_rcp_iflag_f32_e32 v4, v4
	v_mul_f32_e32 v4, 0x4f7ffffe, v4
	v_cvt_u32_f32_e32 v4, v4
	v_mul_lo_u32 v7, s1, v4
	v_mul_hi_u32 v7, v4, v7
	v_add_nc_u32_e32 v4, v4, v7
	v_mul_hi_u32 v4, v5, v4
	v_mul_lo_u32 v7, v4, s18
	v_add_nc_u32_e32 v8, 1, v4
	v_sub_nc_u32_e32 v7, v5, v7
	v_subrev_nc_u32_e32 v10, s18, v7
	v_cmp_le_u32_e32 vcc_lo, s18, v7
	v_cndmask_b32_e32 v7, v7, v10, vcc_lo
	v_cndmask_b32_e32 v4, v4, v8, vcc_lo
	v_cmp_le_u32_e32 vcc_lo, s18, v7
	v_add_nc_u32_e32 v8, 1, v4
	v_cndmask_b32_e32 v7, v4, v8, vcc_lo
	v_mov_b32_e32 v8, v3
.LBB0_6:                                ;   in Loop: Header=BB0_2 Depth=1
	s_or_b32 exec_lo, exec_lo, s0
	s_load_dwordx2 s[0:1], s[6:7], 0x0
	v_mul_lo_u32 v4, v8, s18
	v_mul_lo_u32 v12, v7, s19
	v_mad_u64_u32 v[10:11], null, v7, s18, 0
	s_add_u32 s16, s16, 1
	s_addc_u32 s17, s17, 0
	s_add_u32 s6, s6, 8
	s_addc_u32 s7, s7, 0
	;; [unrolled: 2-line block ×3, first 2 shown]
	v_add3_u32 v4, v11, v12, v4
	v_sub_co_u32 v5, vcc_lo, v5, v10
	v_sub_co_ci_u32_e32 v4, vcc_lo, v6, v4, vcc_lo
	s_waitcnt lgkmcnt(0)
	v_mul_lo_u32 v6, s1, v5
	v_mul_lo_u32 v4, s0, v4
	v_mad_u64_u32 v[1:2], null, s0, v5, v[1:2]
	v_cmp_ge_u64_e64 s0, s[16:17], s[10:11]
	s_and_b32 vcc_lo, exec_lo, s0
	v_add3_u32 v2, v6, v2, v4
	s_cbranch_vccnz .LBB0_9
; %bb.7:                                ;   in Loop: Header=BB0_2 Depth=1
	v_mov_b32_e32 v5, v7
	v_mov_b32_e32 v6, v8
	s_branch .LBB0_2
.LBB0_8:
	v_mov_b32_e32 v8, v6
	v_mov_b32_e32 v7, v5
.LBB0_9:
	s_lshl_b64 s[0:1], s[10:11], 3
	v_and_b32_e32 v6, 1, v9
	s_add_u32 s0, s12, s0
	s_addc_u32 s1, s13, s1
	v_mul_hi_u32 v3, 0x28f5c29, v0
	s_load_dwordx2 s[0:1], s[0:1], 0x0
	s_load_dwordx2 s[4:5], s[4:5], 0x20
	v_cmp_eq_u32_e32 vcc_lo, 1, v6
	v_cndmask_b32_e64 v95, 0, 0x641, vcc_lo
	v_mul_u32_u24_e32 v3, 0x64, v3
	v_lshlrev_b32_e32 v93, 4, v95
	v_sub_nc_u32_e32 v80, v0, v3
	s_waitcnt lgkmcnt(0)
	v_mul_lo_u32 v4, s0, v8
	v_mul_lo_u32 v5, s1, v7
	v_mad_u64_u32 v[1:2], null, s0, v7, v[1:2]
	v_cmp_gt_u64_e32 vcc_lo, s[4:5], v[7:8]
	v_add3_u32 v2, v5, v2, v4
	v_lshlrev_b64 v[82:83], 4, v[1:2]
	s_and_saveexec_b32 s1, vcc_lo
	s_cbranch_execz .LBB0_13
; %bb.10:
	v_mov_b32_e32 v81, 0
	v_add_co_u32 v0, s0, s2, v82
	v_add_co_ci_u32_e64 v1, s0, s3, v83, s0
	v_lshlrev_b64 v[2:3], 4, v[80:81]
	s_mov_b32 s4, exec_lo
	v_add_co_u32 v11, s0, v0, v2
	v_add_co_ci_u32_e64 v12, s0, v1, v3, s0
	v_lshlrev_b32_e32 v2, 4, v80
	v_add_co_u32 v13, s0, 0x800, v11
	v_add_co_ci_u32_e64 v14, s0, 0, v12, s0
	v_add_co_u32 v15, s0, 0x1000, v11
	v_add_co_ci_u32_e64 v16, s0, 0, v12, s0
	;; [unrolled: 2-line block ×11, first 2 shown]
	s_clause 0xf
	global_load_dwordx4 v[3:6], v[11:12], off
	global_load_dwordx4 v[7:10], v[11:12], off offset:1600
	global_load_dwordx4 v[11:14], v[13:14], off offset:1152
	global_load_dwordx4 v[15:18], v[15:16], off offset:704
	global_load_dwordx4 v[19:22], v[23:24], off offset:256
	global_load_dwordx4 v[23:26], v[23:24], off offset:1856
	global_load_dwordx4 v[27:30], v[27:28], off offset:1408
	global_load_dwordx4 v[31:34], v[31:32], off offset:960
	global_load_dwordx4 v[35:38], v[35:36], off offset:512
	global_load_dwordx4 v[39:42], v[43:44], off offset:64
	global_load_dwordx4 v[43:46], v[43:44], off offset:1664
	global_load_dwordx4 v[47:50], v[47:48], off offset:1216
	global_load_dwordx4 v[51:54], v[51:52], off offset:768
	global_load_dwordx4 v[55:58], v[59:60], off offset:320
	global_load_dwordx4 v[59:62], v[59:60], off offset:1920
	global_load_dwordx4 v[63:66], v[63:64], off offset:1472
	v_add3_u32 v2, 0, v93, v2
	s_waitcnt vmcnt(15)
	ds_write_b128 v2, v[3:6]
	s_waitcnt vmcnt(14)
	ds_write_b128 v2, v[7:10] offset:1600
	s_waitcnt vmcnt(13)
	ds_write_b128 v2, v[11:14] offset:3200
	s_waitcnt vmcnt(12)
	ds_write_b128 v2, v[15:18] offset:4800
	s_waitcnt vmcnt(11)
	ds_write_b128 v2, v[19:22] offset:6400
	s_waitcnt vmcnt(10)
	ds_write_b128 v2, v[23:26] offset:8000
	s_waitcnt vmcnt(9)
	ds_write_b128 v2, v[27:30] offset:9600
	s_waitcnt vmcnt(8)
	ds_write_b128 v2, v[31:34] offset:11200
	s_waitcnt vmcnt(7)
	ds_write_b128 v2, v[35:38] offset:12800
	s_waitcnt vmcnt(6)
	ds_write_b128 v2, v[39:42] offset:14400
	s_waitcnt vmcnt(5)
	ds_write_b128 v2, v[43:46] offset:16000
	s_waitcnt vmcnt(4)
	ds_write_b128 v2, v[47:50] offset:17600
	s_waitcnt vmcnt(3)
	ds_write_b128 v2, v[51:54] offset:19200
	s_waitcnt vmcnt(2)
	ds_write_b128 v2, v[55:58] offset:20800
	s_waitcnt vmcnt(1)
	ds_write_b128 v2, v[59:62] offset:22400
	s_waitcnt vmcnt(0)
	ds_write_b128 v2, v[63:66] offset:24000
	v_cmpx_eq_u32_e32 0x63, v80
	s_cbranch_execz .LBB0_12
; %bb.11:
	v_add_co_u32 v0, s0, 0x6000, v0
	v_add_co_ci_u32_e64 v1, s0, 0, v1, s0
	v_mov_b32_e32 v80, 0x63
	global_load_dwordx4 v[3:6], v[0:1], off offset:1024
	s_waitcnt vmcnt(0)
	ds_write_b128 v2, v[3:6] offset:24016
.LBB0_12:
	s_or_b32 exec_lo, exec_lo, s4
.LBB0_13:
	s_or_b32 exec_lo, exec_lo, s1
	v_lshl_add_u32 v92, v95, 4, 0
	v_lshlrev_b32_e32 v11, 4, v80
	s_waitcnt lgkmcnt(0)
	s_barrier
	buffer_gl0_inv
	s_add_u32 s1, s8, 0x6360
	v_add_nc_u32_e32 v94, v92, v11
	v_sub_nc_u32_e32 v10, v92, v11
	s_addc_u32 s4, s9, 0
	s_mov_b32 s5, exec_lo
	ds_read_b64 v[6:7], v94
	ds_read_b64 v[8:9], v10 offset:25600
                                        ; implicit-def: $vgpr4_vgpr5
	s_waitcnt lgkmcnt(0)
	v_add_f64 v[0:1], v[6:7], v[8:9]
	v_add_f64 v[2:3], v[6:7], -v[8:9]
	v_cmpx_ne_u32_e32 0, v80
	s_xor_b32 s5, exec_lo, s5
	s_cbranch_execz .LBB0_15
; %bb.14:
	v_mov_b32_e32 v81, 0
	v_add_f64 v[14:15], v[6:7], v[8:9]
	v_add_f64 v[16:17], v[6:7], -v[8:9]
	v_lshlrev_b64 v[0:1], 4, v[80:81]
	v_add_co_u32 v0, s0, s1, v0
	v_add_co_ci_u32_e64 v1, s0, s4, v1, s0
	global_load_dwordx4 v[2:5], v[0:1], off
	ds_read_b64 v[0:1], v10 offset:25608
	ds_read_b64 v[12:13], v94 offset:8
	s_waitcnt lgkmcnt(0)
	v_add_f64 v[6:7], v[0:1], v[12:13]
	v_add_f64 v[0:1], v[12:13], -v[0:1]
	s_waitcnt vmcnt(0)
	v_fma_f64 v[8:9], v[16:17], v[4:5], v[14:15]
	v_fma_f64 v[12:13], -v[16:17], v[4:5], v[14:15]
	v_fma_f64 v[14:15], v[6:7], v[4:5], -v[0:1]
	v_fma_f64 v[4:5], v[6:7], v[4:5], v[0:1]
	v_fma_f64 v[0:1], -v[6:7], v[2:3], v[8:9]
	v_fma_f64 v[6:7], v[6:7], v[2:3], v[12:13]
	v_fma_f64 v[8:9], v[16:17], v[2:3], v[14:15]
	;; [unrolled: 1-line block ×3, first 2 shown]
	v_mov_b32_e32 v4, v80
	v_mov_b32_e32 v5, v81
	ds_write_b128 v10, v[6:9] offset:25600
.LBB0_15:
	s_andn2_saveexec_b32 s0, s5
	s_cbranch_execz .LBB0_17
; %bb.16:
	ds_read_b128 v[4:7], v92 offset:12800
	s_waitcnt lgkmcnt(0)
	v_add_f64 v[12:13], v[4:5], v[4:5]
	v_mul_f64 v[14:15], v[6:7], -2.0
	v_mov_b32_e32 v4, 0
	v_mov_b32_e32 v5, 0
	ds_write_b128 v92, v[12:15] offset:12800
.LBB0_17:
	s_or_b32 exec_lo, exec_lo, s0
	v_lshlrev_b64 v[4:5], 4, v[4:5]
	ds_write_b128 v94, v[0:3]
	v_add3_u32 v81, 0, v11, v93
	s_mov_b32 s11, 0xbfee6f0e
	s_mov_b32 s7, 0xbfe2cf23
	;; [unrolled: 1-line block ×3, first 2 shown]
	v_add_co_u32 v28, s0, s1, v4
	v_add_co_ci_u32_e64 v29, s0, s4, v5, s0
	s_mov_b32 s4, 0x134454ff
	v_add_co_u32 v8, s0, 0x800, v28
	global_load_dwordx4 v[4:7], v[28:29], off offset:1600
	v_add_co_ci_u32_e64 v9, s0, 0, v29, s0
	s_mov_b32 s5, 0x3fee6f0e
	s_mov_b32 s10, s4
	;; [unrolled: 1-line block ×3, first 2 shown]
	global_load_dwordx4 v[12:15], v[8:9], off offset:1152
	v_add_co_u32 v8, s0, 0x1000, v28
	v_add_co_ci_u32_e64 v9, s0, 0, v29, s0
	v_add_co_u32 v30, s0, 0x1800, v28
	v_add_co_ci_u32_e64 v31, s0, 0, v29, s0
	global_load_dwordx4 v[16:19], v[8:9], off offset:704
	ds_read_b128 v[0:3], v94 offset:1600
	ds_read_b128 v[20:23], v10 offset:24000
	s_mov_b32 s14, 0x9b97f4a8
	global_load_dwordx4 v[24:27], v[30:31], off offset:256
	s_mov_b32 s15, 0x3fe9e377
	v_mul_u32_u24_e32 v166, 10, v80
	s_waitcnt lgkmcnt(0)
	v_add_f64 v[8:9], v[0:1], v[20:21]
	v_add_f64 v[32:33], v[22:23], v[2:3]
	v_add_f64 v[20:21], v[0:1], -v[20:21]
	v_add_f64 v[0:1], v[2:3], -v[22:23]
	s_waitcnt vmcnt(3)
	v_fma_f64 v[2:3], v[20:21], v[6:7], v[8:9]
	v_fma_f64 v[22:23], v[32:33], v[6:7], v[0:1]
	v_fma_f64 v[8:9], -v[20:21], v[6:7], v[8:9]
	v_fma_f64 v[34:35], v[32:33], v[6:7], -v[0:1]
	v_fma_f64 v[0:1], -v[32:33], v[4:5], v[2:3]
	v_fma_f64 v[2:3], v[20:21], v[4:5], v[22:23]
	v_fma_f64 v[6:7], v[32:33], v[4:5], v[8:9]
	;; [unrolled: 1-line block ×3, first 2 shown]
	ds_write_b128 v94, v[0:3] offset:1600
	ds_write_b128 v10, v[6:9] offset:24000
	ds_read_b128 v[0:3], v94 offset:3200
	ds_read_b128 v[4:7], v10 offset:22400
	global_load_dwordx4 v[20:23], v[30:31], off offset:1856
	s_waitcnt lgkmcnt(0)
	v_add_f64 v[8:9], v[0:1], v[4:5]
	v_add_f64 v[30:31], v[6:7], v[2:3]
	v_add_f64 v[32:33], v[0:1], -v[4:5]
	v_add_f64 v[0:1], v[2:3], -v[6:7]
	s_waitcnt vmcnt(3)
	v_fma_f64 v[2:3], v[32:33], v[14:15], v[8:9]
	v_fma_f64 v[4:5], v[30:31], v[14:15], v[0:1]
	v_fma_f64 v[6:7], -v[32:33], v[14:15], v[8:9]
	v_fma_f64 v[8:9], v[30:31], v[14:15], -v[0:1]
	v_fma_f64 v[0:1], -v[30:31], v[12:13], v[2:3]
	v_fma_f64 v[2:3], v[32:33], v[12:13], v[4:5]
	v_fma_f64 v[4:5], v[30:31], v[12:13], v[6:7]
	;; [unrolled: 1-line block ×3, first 2 shown]
	v_add_co_u32 v8, s0, 0x2000, v28
	v_add_co_ci_u32_e64 v9, s0, 0, v29, s0
	ds_write_b128 v94, v[0:3] offset:3200
	ds_write_b128 v10, v[4:7] offset:22400
	ds_read_b128 v[0:3], v94 offset:4800
	ds_read_b128 v[4:7], v10 offset:20800
	global_load_dwordx4 v[12:15], v[8:9], off offset:1408
	s_waitcnt lgkmcnt(0)
	v_add_f64 v[8:9], v[0:1], v[4:5]
	v_add_f64 v[30:31], v[6:7], v[2:3]
	v_add_f64 v[32:33], v[0:1], -v[4:5]
	v_add_f64 v[0:1], v[2:3], -v[6:7]
	s_waitcnt vmcnt(3)
	v_fma_f64 v[2:3], v[32:33], v[18:19], v[8:9]
	v_fma_f64 v[4:5], v[30:31], v[18:19], v[0:1]
	v_fma_f64 v[6:7], -v[32:33], v[18:19], v[8:9]
	v_fma_f64 v[8:9], v[30:31], v[18:19], -v[0:1]
	v_fma_f64 v[0:1], -v[30:31], v[16:17], v[2:3]
	v_fma_f64 v[2:3], v[32:33], v[16:17], v[4:5]
	v_fma_f64 v[4:5], v[30:31], v[16:17], v[6:7]
	;; [unrolled: 1-line block ×3, first 2 shown]
	v_add_co_u32 v8, s0, 0x2800, v28
	v_add_co_ci_u32_e64 v9, s0, 0, v29, s0
	s_mov_b32 s0, 0x4755a5e
	s_mov_b32 s1, 0x3fe2cf23
	;; [unrolled: 1-line block ×3, first 2 shown]
	ds_write_b128 v94, v[0:3] offset:4800
	ds_write_b128 v10, v[4:7] offset:20800
	ds_read_b128 v[0:3], v94 offset:6400
	ds_read_b128 v[4:7], v10 offset:19200
	global_load_dwordx4 v[16:19], v[8:9], off offset:960
	s_waitcnt lgkmcnt(0)
	v_add_f64 v[8:9], v[0:1], v[4:5]
	v_add_f64 v[28:29], v[6:7], v[2:3]
	v_add_f64 v[30:31], v[0:1], -v[4:5]
	v_add_f64 v[0:1], v[2:3], -v[6:7]
	s_waitcnt vmcnt(3)
	v_fma_f64 v[2:3], v[30:31], v[26:27], v[8:9]
	v_fma_f64 v[4:5], v[28:29], v[26:27], v[0:1]
	v_fma_f64 v[6:7], -v[30:31], v[26:27], v[8:9]
	v_fma_f64 v[8:9], v[28:29], v[26:27], -v[0:1]
	v_fma_f64 v[0:1], -v[28:29], v[24:25], v[2:3]
	v_fma_f64 v[2:3], v[30:31], v[24:25], v[4:5]
	v_fma_f64 v[4:5], v[28:29], v[24:25], v[6:7]
	v_fma_f64 v[6:7], v[30:31], v[24:25], v[8:9]
	ds_write_b128 v94, v[0:3] offset:6400
	ds_write_b128 v10, v[4:7] offset:19200
	ds_read_b128 v[0:3], v94 offset:8000
	ds_read_b128 v[4:7], v10 offset:17600
	s_waitcnt lgkmcnt(0)
	v_add_f64 v[8:9], v[0:1], v[4:5]
	v_add_f64 v[24:25], v[6:7], v[2:3]
	v_add_f64 v[26:27], v[0:1], -v[4:5]
	v_add_f64 v[0:1], v[2:3], -v[6:7]
	s_waitcnt vmcnt(2)
	v_fma_f64 v[2:3], v[26:27], v[22:23], v[8:9]
	v_fma_f64 v[4:5], v[24:25], v[22:23], v[0:1]
	v_fma_f64 v[6:7], -v[26:27], v[22:23], v[8:9]
	v_fma_f64 v[8:9], v[24:25], v[22:23], -v[0:1]
	v_fma_f64 v[0:1], -v[24:25], v[20:21], v[2:3]
	v_fma_f64 v[2:3], v[26:27], v[20:21], v[4:5]
	v_fma_f64 v[4:5], v[24:25], v[20:21], v[6:7]
	v_fma_f64 v[6:7], v[26:27], v[20:21], v[8:9]
	ds_write_b128 v94, v[0:3] offset:8000
	ds_write_b128 v10, v[4:7] offset:17600
	ds_read_b128 v[0:3], v94 offset:9600
	ds_read_b128 v[4:7], v10 offset:16000
	;; [unrolled: 18-line block ×3, first 2 shown]
	s_waitcnt lgkmcnt(0)
	v_add_f64 v[8:9], v[0:1], v[4:5]
	v_add_f64 v[12:13], v[6:7], v[2:3]
	v_add_f64 v[14:15], v[0:1], -v[4:5]
	v_add_f64 v[0:1], v[2:3], -v[6:7]
	s_waitcnt vmcnt(0)
	v_fma_f64 v[2:3], v[14:15], v[18:19], v[8:9]
	v_fma_f64 v[4:5], v[12:13], v[18:19], v[0:1]
	v_fma_f64 v[6:7], -v[14:15], v[18:19], v[8:9]
	v_fma_f64 v[8:9], v[12:13], v[18:19], -v[0:1]
	v_fma_f64 v[0:1], -v[12:13], v[16:17], v[2:3]
	v_fma_f64 v[2:3], v[14:15], v[16:17], v[4:5]
	v_fma_f64 v[4:5], v[12:13], v[16:17], v[6:7]
	;; [unrolled: 1-line block ×3, first 2 shown]
	ds_write_b128 v94, v[0:3] offset:11200
	ds_write_b128 v10, v[4:7] offset:14400
	s_waitcnt lgkmcnt(0)
	s_barrier
	buffer_gl0_inv
	s_barrier
	buffer_gl0_inv
	ds_read_b128 v[0:3], v81 offset:5120
	ds_read_b128 v[4:7], v94
	ds_read_b128 v[8:11], v81 offset:10240
	ds_read_b128 v[12:15], v81 offset:15360
	;; [unrolled: 1-line block ×18, first 2 shown]
	s_waitcnt lgkmcnt(0)
	s_barrier
	buffer_gl0_inv
	v_add_f64 v[152:153], v[36:37], -v[24:25]
	v_add_f64 v[156:157], v[26:27], -v[38:39]
	;; [unrolled: 1-line block ×3, first 2 shown]
	v_add_f64 v[122:123], v[62:63], v[66:67]
	v_add_f64 v[120:121], v[60:61], v[64:65]
	v_add_f64 v[128:129], v[64:65], -v[68:69]
	v_add_f64 v[108:109], v[2:3], -v[58:59]
	v_add_f64 v[84:85], v[4:5], v[0:1]
	v_add_f64 v[86:87], v[6:7], v[2:3]
	;; [unrolled: 1-line block ×3, first 2 shown]
	v_add_f64 v[90:91], v[10:11], -v[14:15]
	v_add_f64 v[96:97], v[0:1], -v[8:9]
	;; [unrolled: 1-line block ×3, first 2 shown]
	v_add_f64 v[100:101], v[10:11], v[14:15]
	v_add_f64 v[102:103], v[8:9], -v[12:13]
	v_add_f64 v[104:105], v[2:3], -v[10:11]
	;; [unrolled: 1-line block ×3, first 2 shown]
	v_add_f64 v[110:111], v[0:1], v[56:57]
	v_add_f64 v[2:3], v[2:3], v[58:59]
	v_add_f64 v[112:113], v[56:57], -v[12:13]
	v_add_f64 v[116:117], v[58:59], -v[14:15]
	v_add_f64 v[124:125], v[68:69], v[72:73]
	v_add_f64 v[126:127], v[70:71], -v[74:75]
	v_add_f64 v[132:133], v[70:71], v[74:75]
	v_add_f64 v[136:137], v[66:67], -v[70:71]
	v_add_f64 v[138:139], v[70:71], -v[66:67]
	;; [unrolled: 1-line block ×3, first 2 shown]
	v_add_f64 v[142:143], v[64:65], v[76:77]
	v_add_f64 v[66:67], v[66:67], v[78:79]
	v_add_f64 v[144:145], v[76:77], -v[72:73]
	v_add_f64 v[8:9], v[84:85], v[8:9]
	v_add_f64 v[10:11], v[86:87], v[10:11]
	;; [unrolled: 1-line block ×3, first 2 shown]
	v_add_f64 v[114:115], v[12:13], -v[56:57]
	v_add_f64 v[118:119], v[14:15], -v[58:59]
	;; [unrolled: 1-line block ×8, first 2 shown]
	v_add_f64 v[68:69], v[120:121], v[68:69]
	v_add_f64 v[120:121], v[20:21], -v[16:17]
	v_fma_f64 v[88:89], v[88:89], -0.5, v[4:5]
	v_fma_f64 v[4:5], v[110:111], -0.5, v[4:5]
	;; [unrolled: 1-line block ×5, first 2 shown]
	v_add_f64 v[112:113], v[96:97], v[112:113]
	v_fma_f64 v[60:61], v[142:143], -0.5, v[60:61]
	v_fma_f64 v[62:63], v[66:67], -0.5, v[62:63]
	v_add_f64 v[142:143], v[48:49], -v[52:53]
	v_add_f64 v[8:9], v[8:9], v[12:13]
	v_add_f64 v[10:11], v[10:11], v[14:15]
	v_add_f64 v[12:13], v[40:41], -v[28:29]
	v_add_f64 v[70:71], v[70:71], v[74:75]
	v_add_f64 v[74:75], v[50:51], -v[54:55]
	v_add_f64 v[96:97], v[42:43], -v[30:31]
	v_add_f64 v[116:117], v[104:105], v[116:117]
	v_add_f64 v[104:105], v[24:25], v[20:21]
	;; [unrolled: 1-line block ×4, first 2 shown]
	v_add_f64 v[0:1], v[0:1], -v[56:57]
	v_add_f64 v[64:65], v[64:65], -v[76:77]
	;; [unrolled: 1-line block ×4, first 2 shown]
	v_fma_f64 v[100:101], v[100:101], -0.5, v[6:7]
	v_add_f64 v[6:7], v[22:23], -v[18:19]
	v_add_f64 v[110:111], v[52:53], -v[48:49]
	;; [unrolled: 1-line block ×4, first 2 shown]
	v_add_f64 v[68:69], v[68:69], v[72:73]
	v_add_f64 v[72:73], v[30:31], -v[42:43]
	v_add_f64 v[136:137], v[136:137], v[148:149]
	v_add_f64 v[148:149], v[38:39], -v[18:19]
	v_add_f64 v[114:115], v[98:99], v[114:115]
	v_add_f64 v[98:99], v[26:27], -v[22:23]
	v_add_f64 v[106:107], v[106:107], v[118:119]
	v_add_f64 v[118:119], v[26:27], v[22:23]
	;; [unrolled: 1-line block ×7, first 2 shown]
	v_fma_f64 v[142:143], v[90:91], s[10:11], v[4:5]
	v_fma_f64 v[4:5], v[90:91], s[4:5], v[4:5]
	v_add_f64 v[74:75], v[74:75], v[96:97]
	v_fma_f64 v[96:97], v[102:103], s[4:5], v[2:3]
	v_fma_f64 v[2:3], v[102:103], s[10:11], v[2:3]
	v_add_f64 v[8:9], v[8:9], v[56:57]
	v_add_f64 v[10:11], v[10:11], v[58:59]
	v_fma_f64 v[56:57], v[126:127], s[10:11], v[60:61]
	v_fma_f64 v[58:59], v[126:127], s[4:5], v[60:61]
	v_fma_f64 v[60:61], v[104:105], -0.5, v[32:33]
	v_fma_f64 v[104:105], v[144:145], -0.5, v[32:33]
	v_fma_f64 v[144:145], v[134:135], s[4:5], v[62:63]
	v_fma_f64 v[62:63], v[134:135], s[10:11], v[62:63]
	v_add_f64 v[138:139], v[138:139], v[150:151]
	v_add_f64 v[150:151], v[36:37], -v[16:17]
	v_add_f64 v[84:85], v[152:153], v[84:85]
	v_add_f64 v[152:153], v[24:25], -v[20:21]
	v_add_f64 v[122:123], v[122:123], v[154:155]
	v_add_f64 v[154:155], v[52:53], v[28:29]
	;; [unrolled: 1-line block ×3, first 2 shown]
	v_add_f64 v[156:157], v[54:55], -v[30:31]
	v_add_f64 v[66:67], v[110:111], v[66:67]
	v_add_f64 v[110:111], v[50:51], v[42:43]
	v_add_f64 v[14:15], v[14:15], v[72:73]
	v_add_f64 v[72:73], v[54:55], v[30:31]
	v_fma_f64 v[118:119], v[118:119], -0.5, v[34:35]
	v_add_f64 v[68:69], v[68:69], v[76:77]
	v_add_f64 v[70:71], v[70:71], v[78:79]
	v_fma_f64 v[76:77], v[140:141], s[4:5], v[124:125]
	v_fma_f64 v[78:79], v[140:141], s[10:11], v[124:125]
	;; [unrolled: 1-line block ×8, first 2 shown]
	v_fma_f64 v[146:147], v[146:147], -0.5, v[34:35]
	v_fma_f64 v[158:159], v[0:1], s[6:7], v[96:97]
	v_fma_f64 v[0:1], v[0:1], s[0:1], v[2:3]
	;; [unrolled: 1-line block ×12, first 2 shown]
	v_fma_f64 v[120:121], v[120:121], -0.5, v[44:45]
	v_fma_f64 v[76:77], v[126:127], s[0:1], v[76:77]
	v_fma_f64 v[78:79], v[126:127], s[6:7], v[78:79]
	v_add_f64 v[126:127], v[50:51], -v[42:43]
	v_fma_f64 v[124:125], v[90:91], s[0:1], v[124:125]
	v_fma_f64 v[88:89], v[90:91], s[6:7], v[88:89]
	v_add_f64 v[90:91], v[52:53], -v[28:29]
	;; [unrolled: 3-line block ×3, first 2 shown]
	v_fma_f64 v[102:103], v[154:155], -0.5, v[44:45]
	v_fma_f64 v[72:73], v[72:73], -0.5, v[46:47]
	v_fma_f64 v[2:3], v[134:135], s[6:7], v[2:3]
	v_fma_f64 v[134:135], v[134:135], s[0:1], v[96:97]
	;; [unrolled: 1-line block ×11, first 2 shown]
	v_fma_f64 v[110:111], v[110:111], -0.5, v[46:47]
	v_fma_f64 v[120:121], v[156:157], s[10:11], v[120:121]
	v_fma_f64 v[76:77], v[128:129], s[12:13], v[76:77]
	;; [unrolled: 1-line block ×20, first 2 shown]
	v_lshl_add_u32 v96, v166, 4, 0
	v_fma_f64 v[160:161], v[90:91], s[6:7], v[98:99]
	v_fma_f64 v[72:73], v[90:91], s[0:1], v[72:73]
	v_add_f64 v[97:98], v[8:9], v[68:69]
	v_fma_f64 v[162:163], v[100:101], s[6:7], v[104:105]
	v_fma_f64 v[110:111], v[100:101], s[0:1], v[110:111]
	v_add_f64 v[99:100], v[10:11], v[70:71]
	v_add_f64 v[101:102], v[8:9], -v[68:69]
	v_add_f64 v[103:104], v[10:11], -v[70:71]
	v_fma_f64 v[8:9], v[138:139], s[12:13], v[140:141]
	v_fma_f64 v[10:11], v[130:131], s[12:13], v[56:57]
	;; [unrolled: 1-line block ×13, first 2 shown]
	v_mul_f64 v[66:67], v[76:77], s[14:15]
	v_fma_f64 v[114:115], v[74:75], s[12:13], v[160:161]
	v_fma_f64 v[74:75], v[74:75], s[12:13], v[72:73]
	v_mul_f64 v[68:69], v[76:77], s[6:7]
	v_fma_f64 v[134:135], v[112:113], s[12:13], v[88:89]
	v_fma_f64 v[110:111], v[14:15], s[12:13], v[110:111]
	;; [unrolled: 1-line block ×5, first 2 shown]
	v_mul_f64 v[72:73], v[8:9], s[4:5]
	v_mul_f64 v[76:77], v[10:11], s[10:11]
	v_fma_f64 v[58:59], v[84:85], s[12:13], v[60:61]
	v_mul_f64 v[88:89], v[70:71], s[12:13]
	v_mul_f64 v[105:106], v[90:91], s[12:13]
	v_fma_f64 v[60:61], v[86:87], s[12:13], v[64:65]
	v_mul_f64 v[112:113], v[108:109], s[14:15]
	v_mul_f64 v[132:133], v[62:63], s[14:15]
	;; [unrolled: 1-line block ×7, first 2 shown]
	v_fma_f64 v[164:165], v[2:3], s[0:1], v[66:67]
	v_mul_f64 v[144:145], v[114:115], s[4:5]
	v_mul_f64 v[158:159], v[74:75], s[12:13]
	v_fma_f64 v[2:3], v[2:3], s[14:15], v[68:69]
	v_fma_f64 v[62:63], v[86:87], s[12:13], v[148:149]
	v_mul_f64 v[162:163], v[110:111], s[14:15]
	v_fma_f64 v[68:69], v[122:123], s[12:13], v[154:155]
	v_fma_f64 v[78:79], v[122:123], s[12:13], v[118:119]
	;; [unrolled: 1-line block ×6, first 2 shown]
	v_fma_f64 v[148:149], v[90:91], s[4:5], -v[88:89]
	v_fma_f64 v[154:155], v[70:71], s[10:11], -v[105:106]
	;; [unrolled: 1-line block ×3, first 2 shown]
	v_fma_f64 v[64:65], v[14:15], s[0:1], v[132:133]
	v_fma_f64 v[76:77], v[14:15], s[14:15], v[142:143]
	v_fma_f64 v[86:87], v[114:115], s[12:13], v[150:151]
	v_fma_f64 v[70:71], v[74:75], s[4:5], -v[156:157]
	v_fma_f64 v[74:75], v[110:111], s[0:1], -v[160:161]
	;; [unrolled: 1-line block ×3, first 2 shown]
	v_fma_f64 v[66:67], v[126:127], s[12:13], v[144:145]
	v_fma_f64 v[88:89], v[12:13], s[10:11], -v[158:159]
	v_add_f64 v[105:106], v[124:125], v[164:165]
	v_add_f64 v[107:108], v[140:141], v[2:3]
	v_fma_f64 v[90:91], v[120:121], s[6:7], -v[162:163]
	v_add_f64 v[109:110], v[124:125], -v[164:165]
	v_add_f64 v[111:112], v[140:141], -v[2:3]
	v_cmp_gt_u32_e64 s0, 60, v80
	v_add_f64 v[113:114], v[130:131], v[10:11]
	v_add_f64 v[115:116], v[138:139], v[8:9]
	v_add_f64 v[117:118], v[130:131], -v[10:11]
	v_add_f64 v[119:120], v[138:139], -v[8:9]
	v_add_f64 v[121:122], v[4:5], v[148:149]
	v_add_f64 v[123:124], v[0:1], v[154:155]
	v_add_f64 v[125:126], v[4:5], -v[148:149]
	v_add_f64 v[127:128], v[0:1], -v[154:155]
	v_add_f64 v[129:130], v[134:135], v[6:7]
	v_add_f64 v[133:134], v[134:135], -v[6:7]
	v_add_f64 v[0:1], v[56:57], -v[64:65]
	;; [unrolled: 1-line block ×8, first 2 shown]
	v_add_f64 v[131:132], v[136:137], v[146:147]
	v_add_f64 v[14:15], v[78:79], -v[90:91]
	v_add_f64 v[135:136], v[136:137], -v[146:147]
	v_add_nc_u32_e32 v137, v96, v93
	ds_write_b128 v137, v[97:100]
	ds_write_b128 v137, v[101:104] offset:80
	ds_write_b128 v137, v[105:108] offset:16
	;; [unrolled: 1-line block ×9, first 2 shown]
	s_and_saveexec_b32 s1, s0
	s_cbranch_execz .LBB0_19
; %bb.18:
	v_add_f64 v[34:35], v[34:35], v[38:39]
	v_add_f64 v[38:39], v[46:47], v[54:55]
	;; [unrolled: 1-line block ×24, first 2 shown]
	v_add_f64 v[34:35], v[32:33], -v[36:37]
	v_add_f64 v[38:39], v[32:33], v[36:37]
	v_add_f64 v[36:37], v[40:41], v[42:43]
	v_add_f64 v[32:33], v[40:41], -v[42:43]
	v_lshl_add_u32 v40, v95, 4, v96
	ds_write_b128 v40, v[0:3] offset:16096
	ds_write_b128 v40, v[8:11] offset:16112
	;; [unrolled: 1-line block ×10, first 2 shown]
.LBB0_19:
	s_or_b32 exec_lo, exec_lo, s1
	v_and_b32_e32 v16, 0xff, v80
	v_mov_b32_e32 v18, 15
	s_waitcnt lgkmcnt(0)
	s_barrier
	buffer_gl0_inv
	v_mul_lo_u16 v16, 0xcd, v16
	s_mov_b32 s4, 0x667f3bcd
	s_mov_b32 s5, 0xbfe6a09e
	;; [unrolled: 1-line block ×4, first 2 shown]
	v_lshrrev_b16 v16, 11, v16
	s_mov_b32 s10, 0xcf328d46
	s_mov_b32 s11, 0xbfed906b
	;; [unrolled: 1-line block ×4, first 2 shown]
	v_mul_lo_u16 v17, v16, 10
	s_mov_b32 s12, 0xa6aea964
	s_mov_b32 s13, 0xbfd87de2
	;; [unrolled: 1-line block ×4, first 2 shown]
	v_sub_nc_u16 v40, v80, v17
	v_mul_u32_u24_sdwa v17, v40, v18 dst_sel:DWORD dst_unused:UNUSED_PAD src0_sel:BYTE_0 src1_sel:DWORD
	v_lshlrev_b32_e32 v37, 4, v17
	s_clause 0xe
	global_load_dwordx4 v[17:20], v37, s[8:9]
	global_load_dwordx4 v[21:24], v37, s[8:9] offset:16
	global_load_dwordx4 v[25:28], v37, s[8:9] offset:32
	;; [unrolled: 1-line block ×14, first 2 shown]
	ds_read_b128 v[88:91], v81 offset:1600
	ds_read_b128 v[95:98], v81 offset:3200
	;; [unrolled: 1-line block ×15, first 2 shown]
	ds_read_b128 v[151:154], v94
	s_waitcnt vmcnt(0) lgkmcnt(0)
	s_barrier
	buffer_gl0_inv
	v_mul_f64 v[37:38], v[90:91], v[19:20]
	v_mul_f64 v[19:20], v[88:89], v[19:20]
	;; [unrolled: 1-line block ×28, first 2 shown]
	v_fma_f64 v[37:38], v[88:89], v[17:18], -v[37:38]
	v_fma_f64 v[17:18], v[90:91], v[17:18], v[19:20]
	v_mul_f64 v[19:20], v[147:148], v[86:87]
	v_mul_f64 v[86:87], v[149:150], v[86:87]
	v_fma_f64 v[77:78], v[95:96], v[21:22], -v[77:78]
	v_fma_f64 v[21:22], v[97:98], v[21:22], v[23:24]
	v_fma_f64 v[23:24], v[99:100], v[25:26], -v[155:156]
	v_fma_f64 v[25:26], v[101:102], v[25:26], v[27:28]
	;; [unrolled: 2-line block ×13, first 2 shown]
	v_fma_f64 v[19:20], v[149:150], v[84:85], v[19:20]
	v_fma_f64 v[75:76], v[147:148], v[84:85], -v[86:87]
	v_add_f64 v[47:48], v[151:152], -v[47:48]
	v_add_f64 v[49:50], v[153:154], -v[49:50]
	;; [unrolled: 1-line block ×16, first 2 shown]
	v_fma_f64 v[84:85], v[151:152], 2.0, -v[47:48]
	v_fma_f64 v[86:87], v[153:154], 2.0, -v[49:50]
	;; [unrolled: 1-line block ×3, first 2 shown]
	v_add_f64 v[88:89], v[47:48], -v[61:62]
	v_add_f64 v[51:52], v[49:50], v[51:52]
	v_fma_f64 v[29:30], v[29:30], 2.0, -v[61:62]
	v_add_f64 v[95:96], v[57:58], v[59:60]
	v_add_f64 v[90:91], v[63:64], -v[65:66]
	v_fma_f64 v[61:62], v[77:78], 2.0, -v[63:64]
	v_fma_f64 v[21:22], v[21:22], 2.0, -v[57:58]
	v_add_f64 v[99:100], v[53:54], v[55:56]
	v_add_f64 v[97:98], v[67:68], -v[69:70]
	v_fma_f64 v[35:36], v[35:36], 2.0, -v[59:60]
	v_fma_f64 v[41:42], v[41:42], 2.0, -v[65:66]
	v_add_f64 v[101:102], v[71:72], -v[19:20]
	v_add_f64 v[103:104], v[73:74], v[75:76]
	v_fma_f64 v[37:38], v[37:38], 2.0, -v[67:68]
	v_fma_f64 v[17:18], v[17:18], 2.0, -v[53:54]
	;; [unrolled: 1-line block ×8, first 2 shown]
	v_add_f64 v[27:28], v[84:85], -v[27:28]
	v_fma_f64 v[45:46], v[47:48], 2.0, -v[88:89]
	v_fma_f64 v[47:48], v[49:50], 2.0, -v[51:52]
	v_add_f64 v[29:30], v[86:87], -v[29:30]
	v_fma_f64 v[55:56], v[57:58], 2.0, -v[95:96]
	v_fma_f64 v[49:50], v[63:64], 2.0, -v[90:91]
	v_fma_f64 v[65:66], v[90:91], s[6:7], v[88:89]
	v_fma_f64 v[53:54], v[53:54], 2.0, -v[99:100]
	v_fma_f64 v[57:58], v[67:68], 2.0, -v[97:98]
	v_add_f64 v[35:36], v[61:62], -v[35:36]
	v_add_f64 v[41:42], v[21:22], -v[41:42]
	v_fma_f64 v[59:60], v[71:72], 2.0, -v[101:102]
	v_fma_f64 v[63:64], v[73:74], 2.0, -v[103:104]
	v_fma_f64 v[67:68], v[95:96], s[6:7], v[51:52]
	v_fma_f64 v[69:70], v[101:102], s[6:7], v[97:98]
	v_add_f64 v[31:32], v[37:38], -v[31:32]
	v_add_f64 v[33:34], v[17:18], -v[33:34]
	v_fma_f64 v[71:72], v[103:104], s[6:7], v[99:100]
	v_add_f64 v[43:44], v[23:24], -v[43:44]
	v_add_f64 v[19:20], v[25:26], -v[19:20]
	v_fma_f64 v[84:85], v[84:85], 2.0, -v[27:28]
	v_fma_f64 v[86:87], v[86:87], 2.0, -v[29:30]
	v_fma_f64 v[75:76], v[55:56], s[4:5], v[47:48]
	v_fma_f64 v[73:74], v[49:50], s[4:5], v[45:46]
	;; [unrolled: 1-line block ×3, first 2 shown]
	v_fma_f64 v[61:62], v[61:62], 2.0, -v[35:36]
	v_fma_f64 v[21:22], v[21:22], 2.0, -v[41:42]
	v_fma_f64 v[77:78], v[59:60], s[4:5], v[57:58]
	v_fma_f64 v[105:106], v[63:64], s[4:5], v[53:54]
	v_add_f64 v[107:108], v[27:28], -v[41:42]
	v_add_f64 v[109:110], v[29:30], v[35:36]
	v_fma_f64 v[37:38], v[37:38], 2.0, -v[31:32]
	v_fma_f64 v[17:18], v[17:18], 2.0, -v[33:34]
	v_fma_f64 v[67:68], v[90:91], s[6:7], v[67:68]
	v_fma_f64 v[23:24], v[23:24], 2.0, -v[43:44]
	v_fma_f64 v[25:26], v[25:26], 2.0, -v[19:20]
	v_add_f64 v[35:36], v[31:32], -v[19:20]
	v_add_f64 v[41:42], v[33:34], v[43:44]
	v_fma_f64 v[43:44], v[103:104], s[4:5], v[69:70]
	v_fma_f64 v[69:70], v[101:102], s[6:7], v[71:72]
	;; [unrolled: 1-line block ×4, first 2 shown]
	v_fma_f64 v[88:89], v[88:89], 2.0, -v[65:66]
	v_fma_f64 v[49:50], v[63:64], s[4:5], v[77:78]
	v_fma_f64 v[55:56], v[59:60], s[6:7], v[105:106]
	v_add_f64 v[59:60], v[84:85], -v[61:62]
	v_add_f64 v[61:62], v[86:87], -v[21:22]
	v_fma_f64 v[71:72], v[27:28], 2.0, -v[107:108]
	v_fma_f64 v[77:78], v[29:30], 2.0, -v[109:110]
	;; [unrolled: 1-line block ×3, first 2 shown]
	v_mov_b32_e32 v21, 0xa0
	v_add_f64 v[22:23], v[37:38], -v[23:24]
	v_add_f64 v[19:20], v[17:18], -v[25:26]
	v_fma_f64 v[28:29], v[31:32], 2.0, -v[35:36]
	v_fma_f64 v[30:31], v[33:34], 2.0, -v[41:42]
	;; [unrolled: 1-line block ×6, first 2 shown]
	v_fma_f64 v[24:25], v[35:36], s[6:7], v[107:108]
	v_fma_f64 v[26:27], v[41:42], s[6:7], v[109:110]
	v_mul_u32_u24_sdwa v79, v16, v21 dst_sel:DWORD dst_unused:UNUSED_PAD src0_sel:WORD_0 src1_sel:DWORD
	v_fma_f64 v[47:48], v[57:58], 2.0, -v[49:50]
	v_fma_f64 v[45:46], v[53:54], 2.0, -v[55:56]
	v_fma_f64 v[53:54], v[43:44], s[16:17], v[65:66]
	v_fma_f64 v[57:58], v[69:70], s[16:17], v[67:68]
	v_fma_f64 v[63:64], v[84:85], 2.0, -v[59:60]
	v_fma_f64 v[84:85], v[86:87], 2.0, -v[61:62]
	v_fma_f64 v[111:112], v[49:50], s[14:15], v[73:74]
	v_fma_f64 v[113:114], v[55:56], s[14:15], v[75:76]
	;; [unrolled: 4-line block ×3, first 2 shown]
	v_fma_f64 v[103:104], v[32:33], s[12:13], v[88:89]
	v_fma_f64 v[105:106], v[51:52], s[12:13], v[90:91]
	v_add_f64 v[20:21], v[59:60], -v[19:20]
	v_add_f64 v[22:23], v[61:62], v[22:23]
	v_fma_f64 v[24:25], v[41:42], s[4:5], v[24:25]
	v_fma_f64 v[26:27], v[35:36], s[6:7], v[26:27]
	v_or_b32_sdwa v40, v79, v40 dst_sel:DWORD dst_unused:UNUSED_PAD src0_sel:DWORD src1_sel:BYTE_0
	v_fma_f64 v[115:116], v[47:48], s[10:11], v[95:96]
	v_fma_f64 v[117:118], v[45:46], s[10:11], v[97:98]
	v_fma_f64 v[36:37], v[69:70], s[12:13], v[53:54]
	v_fma_f64 v[38:39], v[43:44], s[14:15], v[57:58]
	v_lshlrev_b32_e32 v40, 4, v40
	v_fma_f64 v[34:35], v[49:50], s[16:17], v[113:114]
	v_add_f64 v[41:42], v[63:64], -v[86:87]
	v_add_f64 v[43:44], v[84:85], -v[17:18]
	v_fma_f64 v[16:17], v[30:31], s[4:5], v[99:100]
	v_fma_f64 v[18:19], v[28:29], s[6:7], v[101:102]
	;; [unrolled: 1-line block ×5, first 2 shown]
	v_fma_f64 v[49:50], v[59:60], 2.0, -v[20:21]
	v_fma_f64 v[51:52], v[61:62], 2.0, -v[22:23]
	;; [unrolled: 1-line block ×4, first 2 shown]
	v_add3_u32 v40, 0, v40, v93
	v_fma_f64 v[45:46], v[45:46], s[12:13], v[115:116]
	v_fma_f64 v[47:48], v[47:48], s[14:15], v[117:118]
	v_fma_f64 v[57:58], v[65:66], 2.0, -v[36:37]
	v_fma_f64 v[59:60], v[67:68], 2.0, -v[38:39]
	;; [unrolled: 1-line block ×12, first 2 shown]
	ds_write_b128 v40, v[20:23] offset:1920
	ds_write_b128 v40, v[24:27] offset:2240
	;; [unrolled: 1-line block ×10, first 2 shown]
	ds_write_b128 v40, v[61:64]
	ds_write_b128 v40, v[65:68] offset:320
	ds_write_b128 v40, v[69:72] offset:480
	;; [unrolled: 1-line block ×5, first 2 shown]
	s_waitcnt lgkmcnt(0)
	s_barrier
	buffer_gl0_inv
	ds_read_b128 v[40:43], v94
	ds_read_b128 v[48:51], v81 offset:2560
	ds_read_b128 v[52:55], v81 offset:5120
	;; [unrolled: 1-line block ×9, first 2 shown]
	s_and_saveexec_b32 s1, s0
	s_cbranch_execz .LBB0_21
; %bb.20:
	ds_read_b128 v[16:19], v81 offset:1600
	ds_read_b128 v[28:31], v81 offset:4160
	;; [unrolled: 1-line block ×10, first 2 shown]
.LBB0_21:
	s_or_b32 exec_lo, exec_lo, s1
	v_mul_u32_u24_e32 v84, 9, v80
	s_mov_b32 s4, 0x134454ff
	s_mov_b32 s5, 0x3fee6f0e
	;; [unrolled: 1-line block ×4, first 2 shown]
	v_lshlrev_b32_e32 v84, 4, v84
	s_mov_b32 s6, 0x4755a5e
	s_mov_b32 s7, 0x3fe2cf23
	s_mov_b32 s15, 0xbfe2cf23
	s_mov_b32 s14, s6
	v_add_co_u32 v84, s1, s8, v84
	v_add_co_ci_u32_e64 v85, null, s9, 0, s1
	s_mov_b32 s10, 0x372fe950
	v_add_co_u32 v109, s1, 0x960, v84
	v_add_co_ci_u32_e64 v110, s1, 0, v85, s1
	v_add_co_u32 v101, s1, 0x800, v84
	v_add_co_ci_u32_e64 v102, s1, 0, v85, s1
	v_add_co_u32 v117, s1, 0x9a0, v84
	v_add_co_ci_u32_e64 v118, s1, 0, v85, s1
	s_clause 0x8
	global_load_dwordx4 v[84:87], v[109:110], off offset:32
	global_load_dwordx4 v[88:91], v[101:102], off offset:416
	;; [unrolled: 1-line block ×9, first 2 shown]
	s_mov_b32 s11, 0x3fd3c6ef
	s_mov_b32 s16, 0x9b97f4a8
	;; [unrolled: 1-line block ×3, first 2 shown]
	s_waitcnt vmcnt(0) lgkmcnt(0)
	s_barrier
	buffer_gl0_inv
	v_mul_f64 v[121:122], v[66:67], v[86:87]
	v_mul_f64 v[123:124], v[70:71], v[90:91]
	;; [unrolled: 1-line block ×17, first 2 shown]
	v_fma_f64 v[64:65], v[64:65], v[84:85], -v[121:122]
	v_fma_f64 v[68:69], v[68:69], v[88:89], -v[123:124]
	v_fma_f64 v[70:71], v[70:71], v[88:89], v[90:91]
	v_fma_f64 v[72:73], v[72:73], v[93:94], -v[125:126]
	v_fma_f64 v[74:75], v[74:75], v[93:94], v[95:96]
	v_fma_f64 v[66:67], v[66:67], v[84:85], v[86:87]
	;; [unrolled: 1-line block ×3, first 2 shown]
	v_fma_f64 v[76:77], v[76:77], v[97:98], -v[99:100]
	v_mul_f64 v[84:85], v[46:47], v[119:120]
	v_fma_f64 v[48:49], v[48:49], v[101:102], -v[129:130]
	v_fma_f64 v[50:51], v[50:51], v[101:102], v[103:104]
	v_fma_f64 v[52:53], v[52:53], v[105:106], -v[131:132]
	v_fma_f64 v[54:55], v[54:55], v[105:106], v[107:108]
	;; [unrolled: 2-line block ×4, first 2 shown]
	v_fma_f64 v[46:47], v[46:47], v[117:118], v[137:138]
	v_add_f64 v[127:128], v[64:65], -v[68:69]
	v_add_f64 v[131:132], v[68:69], -v[64:65]
	v_add_f64 v[86:87], v[68:69], v[72:73]
	v_add_f64 v[88:89], v[70:71], v[74:75]
	v_add_f64 v[103:104], v[70:71], -v[74:75]
	v_add_f64 v[90:91], v[66:67], v[78:79]
	v_add_f64 v[93:94], v[64:65], v[76:77]
	v_fma_f64 v[44:45], v[44:45], v[117:118], -v[84:85]
	v_add_f64 v[101:102], v[66:67], -v[78:79]
	v_add_f64 v[105:106], v[64:65], -v[76:77]
	;; [unrolled: 1-line block ×6, first 2 shown]
	v_add_f64 v[95:96], v[56:57], v[60:61]
	v_add_f64 v[121:122], v[58:59], v[62:63]
	;; [unrolled: 1-line block ×3, first 2 shown]
	v_add_f64 v[137:138], v[78:79], -v[74:75]
	v_add_f64 v[139:140], v[70:71], -v[66:67]
	;; [unrolled: 1-line block ×3, first 2 shown]
	v_add_f64 v[84:85], v[40:41], v[52:53]
	v_add_f64 v[119:120], v[42:43], v[54:55]
	v_add_f64 v[97:98], v[54:55], -v[46:47]
	v_add_f64 v[99:100], v[58:59], -v[62:63]
	v_fma_f64 v[86:87], v[86:87], -0.5, v[48:49]
	v_fma_f64 v[88:89], v[88:89], -0.5, v[50:51]
	v_add_f64 v[109:110], v[52:53], -v[56:57]
	v_fma_f64 v[90:91], v[90:91], -0.5, v[50:51]
	v_fma_f64 v[93:94], v[93:94], -0.5, v[48:49]
	v_add_f64 v[113:114], v[52:53], v[44:45]
	v_add_f64 v[48:49], v[48:49], v[64:65]
	;; [unrolled: 1-line block ×3, first 2 shown]
	v_add_f64 v[115:116], v[56:57], -v[52:53]
	v_add_f64 v[117:118], v[60:61], -v[44:45]
	;; [unrolled: 1-line block ×4, first 2 shown]
	v_fma_f64 v[64:65], v[95:96], -0.5, v[40:41]
	v_fma_f64 v[66:67], v[121:122], -0.5, v[42:43]
	;; [unrolled: 1-line block ×3, first 2 shown]
	v_add_f64 v[95:96], v[127:128], v[129:130]
	v_add_f64 v[121:122], v[135:136], v[137:138]
	v_add_f64 v[111:112], v[44:45], -v[60:61]
	v_add_f64 v[125:126], v[139:140], v[141:142]
	v_add_f64 v[151:152], v[54:55], -v[58:59]
	v_add_f64 v[54:55], v[58:59], -v[54:55]
	v_add_f64 v[56:57], v[84:85], v[56:57]
	v_fma_f64 v[149:150], v[101:102], s[12:13], v[86:87]
	v_fma_f64 v[143:144], v[105:106], s[12:13], v[88:89]
	;; [unrolled: 1-line block ×8, first 2 shown]
	v_fma_f64 v[40:41], v[113:114], -0.5, v[40:41]
	v_add_f64 v[113:114], v[131:132], v[133:134]
	v_add_f64 v[58:59], v[119:120], v[58:59]
	;; [unrolled: 1-line block ×4, first 2 shown]
	v_add_f64 v[153:154], v[46:47], -v[62:63]
	v_fma_f64 v[68:69], v[97:98], s[4:5], v[64:65]
	v_fma_f64 v[64:65], v[97:98], s[12:13], v[64:65]
	v_add_f64 v[155:156], v[62:63], -v[46:47]
	v_add_f64 v[84:85], v[109:110], v[111:112]
	v_add_f64 v[56:57], v[56:57], v[60:61]
	v_fma_f64 v[133:134], v[103:104], s[14:15], v[149:150]
	v_fma_f64 v[127:128], v[107:108], s[14:15], v[143:144]
	;; [unrolled: 1-line block ×8, first 2 shown]
	v_add_f64 v[101:102], v[115:116], v[117:118]
	v_fma_f64 v[70:71], v[99:100], s[12:13], v[40:41]
	v_fma_f64 v[40:41], v[99:100], s[4:5], v[40:41]
	;; [unrolled: 1-line block ×6, first 2 shown]
	v_add_f64 v[58:59], v[58:59], v[62:63]
	v_add_f64 v[48:49], v[48:49], v[72:73]
	;; [unrolled: 1-line block ×3, first 2 shown]
	v_fma_f64 v[60:61], v[99:100], s[6:7], v[68:69]
	v_fma_f64 v[62:63], v[99:100], s[14:15], v[64:65]
	v_add_f64 v[54:55], v[54:55], v[155:156]
	v_add_f64 v[56:57], v[56:57], v[44:45]
	v_fma_f64 v[115:116], v[95:96], s[10:11], v[133:134]
	v_fma_f64 v[107:108], v[121:122], s[10:11], v[127:128]
	;; [unrolled: 1-line block ×8, first 2 shown]
	v_add_f64 v[95:96], v[151:152], v[153:154]
	v_fma_f64 v[64:65], v[97:98], s[6:7], v[70:71]
	v_fma_f64 v[40:41], v[97:98], s[14:15], v[40:41]
	;; [unrolled: 1-line block ×6, first 2 shown]
	v_add_f64 v[58:59], v[58:59], v[46:47]
	v_add_f64 v[46:47], v[48:49], v[76:77]
	;; [unrolled: 1-line block ×3, first 2 shown]
	v_fma_f64 v[76:77], v[84:85], s[10:11], v[60:61]
	v_fma_f64 v[78:79], v[84:85], s[10:11], v[62:63]
	v_mul_f64 v[97:98], v[115:116], s[16:17]
	v_mul_f64 v[52:53], v[107:108], s[6:7]
	;; [unrolled: 1-line block ×8, first 2 shown]
	v_fma_f64 v[84:85], v[101:102], s[10:11], v[64:65]
	v_fma_f64 v[40:41], v[101:102], s[10:11], v[40:41]
	;; [unrolled: 1-line block ×6, first 2 shown]
	v_add_f64 v[42:43], v[56:57], v[46:47]
	v_add_f64 v[44:45], v[58:59], v[48:49]
	v_add_f64 v[46:47], v[56:57], -v[46:47]
	v_add_f64 v[48:49], v[58:59], -v[48:49]
	v_fma_f64 v[66:67], v[86:87], s[16:17], v[52:53]
	v_fma_f64 v[86:87], v[88:89], s[6:7], -v[97:98]
	v_fma_f64 v[88:89], v[107:108], s[16:17], v[99:100]
	v_fma_f64 v[70:71], v[93:94], s[10:11], v[72:73]
	v_fma_f64 v[72:73], v[90:91], s[4:5], -v[74:75]
	v_fma_f64 v[90:91], v[109:110], s[10:11], v[103:104]
	v_fma_f64 v[93:94], v[111:112], s[12:13], -v[105:106]
	v_fma_f64 v[97:98], v[115:116], s[14:15], -v[113:114]
	v_add_f64 v[50:51], v[76:77], v[66:67]
	v_add_f64 v[62:63], v[78:79], v[86:87]
	;; [unrolled: 1-line block ×8, first 2 shown]
	v_add_f64 v[66:67], v[76:77], -v[66:67]
	v_add_f64 v[68:69], v[68:69], -v[88:89]
	;; [unrolled: 1-line block ×8, first 2 shown]
	v_mov_b32_e32 v41, 0
	ds_write_b128 v81, v[42:45]
	ds_write_b128 v81, v[46:49] offset:12800
	ds_write_b128 v81, v[50:53] offset:2560
	;; [unrolled: 1-line block ×9, first 2 shown]
	s_and_saveexec_b32 s1, s0
	s_cbranch_execz .LBB0_23
; %bb.22:
	v_add_nc_u32_e32 v40, 0x64, v80
	v_subrev_nc_u32_e32 v42, 60, v80
	v_cndmask_b32_e64 v40, v42, v40, s0
	v_mul_i32_i24_e32 v40, 9, v40
	v_lshlrev_b64 v[40:41], 4, v[40:41]
	v_add_co_u32 v40, s0, s8, v40
	v_add_co_ci_u32_e64 v41, s0, s9, v41, s0
	v_add_co_u32 v60, s0, 0x960, v40
	v_add_co_ci_u32_e64 v61, s0, 0, v41, s0
	;; [unrolled: 2-line block ×4, first 2 shown]
	s_clause 0x8
	global_load_dwordx4 v[40:43], v[60:61], off offset:32
	global_load_dwordx4 v[44:47], v[72:73], off offset:416
	;; [unrolled: 1-line block ×9, first 2 shown]
	s_waitcnt vmcnt(8)
	v_mul_f64 v[76:77], v[34:35], v[42:43]
	s_waitcnt vmcnt(7)
	v_mul_f64 v[78:79], v[38:39], v[46:47]
	v_mul_f64 v[42:43], v[32:33], v[42:43]
	;; [unrolled: 1-line block ×3, first 2 shown]
	s_waitcnt vmcnt(6)
	v_mul_f64 v[84:85], v[8:9], v[50:51]
	s_waitcnt vmcnt(5)
	v_mul_f64 v[86:87], v[12:13], v[54:55]
	v_mul_f64 v[54:55], v[14:15], v[54:55]
	;; [unrolled: 1-line block ×3, first 2 shown]
	s_waitcnt vmcnt(0)
	v_mul_f64 v[97:98], v[30:31], v[74:75]
	v_mul_f64 v[74:75], v[28:29], v[74:75]
	;; [unrolled: 1-line block ×6, first 2 shown]
	v_fma_f64 v[32:33], v[32:33], v[40:41], -v[76:77]
	v_fma_f64 v[36:37], v[36:37], v[44:45], -v[78:79]
	v_fma_f64 v[34:35], v[34:35], v[40:41], v[42:43]
	v_fma_f64 v[38:39], v[38:39], v[44:45], v[46:47]
	;; [unrolled: 1-line block ×4, first 2 shown]
	v_fma_f64 v[12:13], v[12:13], v[52:53], -v[54:55]
	v_fma_f64 v[8:9], v[8:9], v[48:49], -v[50:51]
	v_mul_f64 v[40:41], v[26:27], v[62:63]
	v_mul_f64 v[42:43], v[2:3], v[70:71]
	;; [unrolled: 1-line block ×4, first 2 shown]
	v_fma_f64 v[28:29], v[28:29], v[72:73], -v[97:98]
	v_fma_f64 v[30:31], v[30:31], v[72:73], v[74:75]
	v_fma_f64 v[22:23], v[22:23], v[56:57], v[88:89]
	;; [unrolled: 1-line block ×5, first 2 shown]
	v_add_f64 v[66:67], v[32:33], -v[36:37]
	v_add_f64 v[84:85], v[36:37], -v[32:33]
	;; [unrolled: 1-line block ×3, first 2 shown]
	v_add_f64 v[48:49], v[38:39], v[10:11]
	v_add_f64 v[50:51], v[34:35], v[14:15]
	;; [unrolled: 1-line block ×4, first 2 shown]
	v_fma_f64 v[24:25], v[24:25], v[60:61], -v[40:41]
	v_fma_f64 v[0:1], v[0:1], v[68:69], -v[42:43]
	;; [unrolled: 1-line block ×4, first 2 shown]
	v_add_f64 v[40:41], v[34:35], -v[14:15]
	v_add_f64 v[42:43], v[38:39], -v[10:11]
	;; [unrolled: 1-line block ×5, first 2 shown]
	v_add_f64 v[64:65], v[26:27], v[2:3]
	v_add_f64 v[72:73], v[14:15], -v[10:11]
	v_add_f64 v[78:79], v[22:23], v[6:7]
	v_add_f64 v[86:87], v[8:9], -v[12:13]
	v_add_f64 v[88:89], v[38:39], -v[34:35]
	;; [unrolled: 1-line block ×3, first 2 shown]
	v_add_f64 v[93:94], v[18:19], v[22:23]
	v_add_f64 v[56:57], v[22:23], -v[26:27]
	v_add_f64 v[58:59], v[6:7], -v[2:3]
	v_fma_f64 v[48:49], v[48:49], -0.5, v[30:31]
	v_fma_f64 v[50:51], v[50:51], -0.5, v[30:31]
	;; [unrolled: 1-line block ×4, first 2 shown]
	v_add_f64 v[30:31], v[30:31], v[34:35]
	v_add_f64 v[101:102], v[24:25], v[0:1]
	;; [unrolled: 1-line block ×5, first 2 shown]
	v_add_f64 v[60:61], v[24:25], -v[0:1]
	v_add_f64 v[62:63], v[20:21], -v[4:5]
	;; [unrolled: 1-line block ×6, first 2 shown]
	v_fma_f64 v[32:33], v[64:65], -0.5, v[18:19]
	v_add_f64 v[64:65], v[66:67], v[68:69]
	v_add_f64 v[66:67], v[70:71], v[72:73]
	v_fma_f64 v[18:19], v[78:79], -0.5, v[18:19]
	v_add_f64 v[68:69], v[84:85], v[86:87]
	v_add_f64 v[70:71], v[88:89], v[90:91]
	v_add_f64 v[105:106], v[20:21], -v[24:25]
	v_fma_f64 v[34:35], v[46:47], s[4:5], v[48:49]
	v_fma_f64 v[95:96], v[44:45], s[12:13], v[50:51]
	;; [unrolled: 1-line block ×8, first 2 shown]
	v_fma_f64 v[86:87], v[101:102], -0.5, v[16:17]
	v_fma_f64 v[16:17], v[103:104], -0.5, v[16:17]
	v_add_f64 v[20:21], v[24:25], -v[20:21]
	v_add_f64 v[26:27], v[93:94], v[26:27]
	v_add_f64 v[30:31], v[30:31], v[38:39]
	;; [unrolled: 1-line block ×4, first 2 shown]
	v_add_f64 v[107:108], v[4:5], -v[0:1]
	v_add_f64 v[88:89], v[0:1], -v[4:5]
	v_fma_f64 v[36:37], v[62:63], s[4:5], v[32:33]
	v_fma_f64 v[38:39], v[60:61], s[12:13], v[18:19]
	;; [unrolled: 1-line block ×12, first 2 shown]
	v_add_f64 v[48:49], v[56:57], v[58:59]
	v_add_f64 v[50:51], v[74:75], v[76:77]
	v_fma_f64 v[74:75], v[22:23], s[4:5], v[86:87]
	v_fma_f64 v[58:59], v[22:23], s[12:13], v[86:87]
	v_add_f64 v[2:3], v[26:27], v[2:3]
	v_add_f64 v[10:11], v[30:31], v[10:11]
	;; [unrolled: 1-line block ×5, first 2 shown]
	v_fma_f64 v[24:25], v[60:61], s[6:7], v[36:37]
	v_fma_f64 v[26:27], v[62:63], s[6:7], v[38:39]
	;; [unrolled: 1-line block ×14, first 2 shown]
	v_add_f64 v[64:65], v[105:106], v[107:108]
	v_fma_f64 v[58:59], v[109:110], s[14:15], v[58:59]
	v_add_f64 v[6:7], v[2:3], v[6:7]
	v_add_f64 v[10:11], v[10:11], v[14:15]
	;; [unrolled: 1-line block ×4, first 2 shown]
	v_fma_f64 v[12:13], v[48:49], s[10:11], v[24:25]
	v_fma_f64 v[24:25], v[50:51], s[10:11], v[26:27]
	;; [unrolled: 1-line block ×4, first 2 shown]
	v_mul_f64 v[30:31], v[34:35], s[16:17]
	v_mul_f64 v[32:33], v[52:53], s[10:11]
	;; [unrolled: 1-line block ×4, first 2 shown]
	v_fma_f64 v[60:61], v[22:23], s[14:15], v[72:73]
	v_fma_f64 v[16:17], v[22:23], s[6:7], v[16:17]
	;; [unrolled: 1-line block ×3, first 2 shown]
	v_mul_f64 v[62:63], v[44:45], s[6:7]
	v_mul_f64 v[66:67], v[46:47], s[4:5]
	;; [unrolled: 1-line block ×4, first 2 shown]
	v_add_f64 v[2:3], v[6:7], -v[10:11]
	v_add_f64 v[6:7], v[6:7], v[10:11]
	v_add_f64 v[0:1], v[4:5], -v[8:9]
	v_add_f64 v[4:5], v[4:5], v[8:9]
	v_fma_f64 v[26:27], v[42:43], s[14:15], -v[30:31]
	v_fma_f64 v[30:31], v[40:41], s[12:13], -v[32:33]
	v_fma_f64 v[32:33], v[46:47], s[10:11], v[36:37]
	v_fma_f64 v[36:37], v[44:45], s[16:17], v[38:39]
	;; [unrolled: 1-line block ×7, first 2 shown]
	v_fma_f64 v[48:49], v[52:53], s[4:5], -v[68:69]
	v_fma_f64 v[40:41], v[64:65], s[10:11], v[58:59]
	v_fma_f64 v[52:53], v[34:35], s[6:7], -v[70:71]
	v_add_f64 v[10:11], v[12:13], -v[26:27]
	v_add_f64 v[14:15], v[24:25], -v[30:31]
	;; [unrolled: 1-line block ×4, first 2 shown]
	v_add_f64 v[38:39], v[28:29], v[36:37]
	v_add_f64 v[34:35], v[50:51], v[32:33]
	v_add_f64 v[30:31], v[24:25], v[30:31]
	v_add_f64 v[36:37], v[20:21], v[44:45]
	v_add_f64 v[32:33], v[16:17], v[46:47]
	v_add_f64 v[28:29], v[42:43], v[48:49]
	v_add_f64 v[26:27], v[12:13], v[26:27]
	v_add_f64 v[24:25], v[40:41], v[52:53]
	v_add_f64 v[20:21], v[20:21], -v[44:45]
	v_add_f64 v[16:17], v[16:17], -v[46:47]
	;; [unrolled: 1-line block ×4, first 2 shown]
	ds_write_b128 v81, v[4:7] offset:1600
	ds_write_b128 v81, v[0:3] offset:14400
	;; [unrolled: 1-line block ×10, first 2 shown]
.LBB0_23:
	s_or_b32 exec_lo, exec_lo, s1
	s_waitcnt lgkmcnt(0)
	s_barrier
	buffer_gl0_inv
	s_and_saveexec_b32 s0, vcc_lo
	s_cbranch_execz .LBB0_25
; %bb.24:
	v_lshl_add_u32 v30, v80, 4, v92
	v_mov_b32_e32 v81, 0
	v_add_co_u32 v31, vcc_lo, s2, v82
	v_add_nc_u32_e32 v8, 0x64, v80
	ds_read_b128 v[0:3], v30
	ds_read_b128 v[4:7], v30 offset:1600
	v_lshlrev_b64 v[10:11], 4, v[80:81]
	v_mov_b32_e32 v9, v81
	v_add_co_ci_u32_e32 v32, vcc_lo, s3, v83, vcc_lo
	v_add_nc_u32_e32 v16, 0xc8, v80
	v_mov_b32_e32 v17, v81
	v_add_co_u32 v20, vcc_lo, v31, v10
	v_lshlrev_b64 v[22:23], 4, v[8:9]
	v_add_nc_u32_e32 v18, 0x12c, v80
	v_mov_b32_e32 v19, v81
	v_add_co_ci_u32_e32 v21, vcc_lo, v32, v11, vcc_lo
	ds_read_b128 v[8:11], v30 offset:3200
	ds_read_b128 v[12:15], v30 offset:4800
	v_lshlrev_b64 v[16:17], 4, v[16:17]
	v_lshlrev_b64 v[18:19], 4, v[18:19]
	v_add_nc_u32_e32 v24, 0x190, v80
	v_mov_b32_e32 v25, v81
	s_waitcnt lgkmcnt(3)
	global_store_dwordx4 v[20:21], v[0:3], off
	v_add_co_u32 v20, vcc_lo, v31, v22
	v_add_co_ci_u32_e32 v21, vcc_lo, v32, v23, vcc_lo
	v_add_co_u32 v22, vcc_lo, v31, v16
	v_add_co_ci_u32_e32 v23, vcc_lo, v32, v17, vcc_lo
	v_add_co_u32 v26, vcc_lo, v31, v18
	ds_read_b128 v[0:3], v30 offset:6400
	v_add_co_ci_u32_e32 v27, vcc_lo, v32, v19, vcc_lo
	ds_read_b128 v[16:19], v30 offset:8000
	v_add_nc_u32_e32 v28, 0x1f4, v80
	v_mov_b32_e32 v29, v81
	v_lshlrev_b64 v[24:25], 4, v[24:25]
	s_waitcnt lgkmcnt(4)
	global_store_dwordx4 v[20:21], v[4:7], off
	s_waitcnt lgkmcnt(3)
	global_store_dwordx4 v[22:23], v[8:11], off
	;; [unrolled: 2-line block ×3, first 2 shown]
	v_add_nc_u32_e32 v8, 0x258, v80
	v_mov_b32_e32 v9, v81
	v_lshlrev_b64 v[4:5], 4, v[28:29]
	v_add_nc_u32_e32 v10, 0x2bc, v80
	v_add_co_u32 v6, vcc_lo, v31, v24
	v_add_co_ci_u32_e32 v7, vcc_lo, v32, v25, vcc_lo
	v_add_co_u32 v4, vcc_lo, v31, v4
	v_add_co_ci_u32_e32 v5, vcc_lo, v32, v5, vcc_lo
	v_mov_b32_e32 v11, v81
	s_waitcnt lgkmcnt(1)
	global_store_dwordx4 v[6:7], v[0:3], off
	v_lshlrev_b64 v[12:13], 4, v[8:9]
	s_waitcnt lgkmcnt(0)
	global_store_dwordx4 v[4:5], v[16:19], off
	ds_read_b128 v[0:3], v30 offset:9600
	ds_read_b128 v[4:7], v30 offset:11200
	v_lshlrev_b64 v[14:15], 4, v[10:11]
	ds_read_b128 v[8:11], v30 offset:12800
	v_add_nc_u32_e32 v16, 0x320, v80
	v_mov_b32_e32 v17, v81
	v_add_co_u32 v20, vcc_lo, v31, v12
	v_add_co_ci_u32_e32 v21, vcc_lo, v32, v13, vcc_lo
	v_lshlrev_b64 v[12:13], 4, v[16:17]
	v_add_nc_u32_e32 v16, 0x384, v80
	v_add_co_u32 v22, vcc_lo, v31, v14
	v_add_co_ci_u32_e32 v23, vcc_lo, v32, v15, vcc_lo
	v_lshlrev_b64 v[26:27], 4, v[16:17]
	ds_read_b128 v[16:19], v30 offset:16000
	v_add_co_u32 v24, vcc_lo, v31, v12
	v_add_nc_u32_e32 v28, 0x3e8, v80
	v_add_co_ci_u32_e32 v25, vcc_lo, v32, v13, vcc_lo
	ds_read_b128 v[12:15], v30 offset:14400
	s_waitcnt lgkmcnt(4)
	global_store_dwordx4 v[20:21], v[0:3], off
	s_waitcnt lgkmcnt(3)
	global_store_dwordx4 v[22:23], v[4:7], off
	;; [unrolled: 2-line block ×3, first 2 shown]
	v_lshlrev_b64 v[0:1], 4, v[28:29]
	v_add_co_u32 v2, vcc_lo, v31, v26
	v_add_co_ci_u32_e32 v3, vcc_lo, v32, v27, vcc_lo
	v_add_nc_u32_e32 v4, 0x44c, v80
	v_mov_b32_e32 v5, v81
	v_add_co_u32 v6, vcc_lo, v31, v0
	v_add_co_ci_u32_e32 v7, vcc_lo, v32, v1, vcc_lo
	v_add_nc_u32_e32 v8, 0x4b0, v80
	v_mov_b32_e32 v9, v81
	v_lshlrev_b64 v[4:5], 4, v[4:5]
	s_waitcnt lgkmcnt(1)
	global_store_dwordx4 v[6:7], v[16:19], off
	v_add_nc_u32_e32 v24, 0x578, v80
	v_mov_b32_e32 v25, v81
	v_lshlrev_b64 v[6:7], 4, v[8:9]
	s_waitcnt lgkmcnt(0)
	global_store_dwordx4 v[2:3], v[12:15], off
	v_add_co_u32 v20, vcc_lo, v31, v4
	v_add_nc_u32_e32 v12, 0x514, v80
	v_mov_b32_e32 v13, v81
	v_add_co_ci_u32_e32 v21, vcc_lo, v32, v5, vcc_lo
	v_add_co_u32 v22, vcc_lo, v31, v6
	ds_read_b128 v[0:3], v30 offset:17600
	v_add_co_ci_u32_e32 v23, vcc_lo, v32, v7, vcc_lo
	ds_read_b128 v[4:7], v30 offset:19200
	ds_read_b128 v[8:11], v30 offset:20800
	v_lshlrev_b64 v[26:27], 4, v[12:13]
	ds_read_b128 v[12:15], v30 offset:22400
	ds_read_b128 v[16:19], v30 offset:24000
	v_add_nc_u32_e32 v80, 0x5dc, v80
	v_lshlrev_b64 v[24:25], 4, v[24:25]
	v_add_co_u32 v26, vcc_lo, v31, v26
	v_lshlrev_b64 v[28:29], 4, v[80:81]
	v_add_co_ci_u32_e32 v27, vcc_lo, v32, v27, vcc_lo
	v_add_co_u32 v24, vcc_lo, v31, v24
	v_add_co_ci_u32_e32 v25, vcc_lo, v32, v25, vcc_lo
	v_add_co_u32 v28, vcc_lo, v31, v28
	v_add_co_ci_u32_e32 v29, vcc_lo, v32, v29, vcc_lo
	s_waitcnt lgkmcnt(4)
	global_store_dwordx4 v[20:21], v[0:3], off
	s_waitcnt lgkmcnt(3)
	global_store_dwordx4 v[22:23], v[4:7], off
	;; [unrolled: 2-line block ×5, first 2 shown]
.LBB0_25:
	s_endpgm
	.section	.rodata,"a",@progbits
	.p2align	6, 0x0
	.amdhsa_kernel fft_rtc_fwd_len1600_factors_10_16_10_wgs_200_tpt_100_halfLds_dp_ip_CI_unitstride_sbrr_C2R_dirReg
		.amdhsa_group_segment_fixed_size 0
		.amdhsa_private_segment_fixed_size 0
		.amdhsa_kernarg_size 88
		.amdhsa_user_sgpr_count 6
		.amdhsa_user_sgpr_private_segment_buffer 1
		.amdhsa_user_sgpr_dispatch_ptr 0
		.amdhsa_user_sgpr_queue_ptr 0
		.amdhsa_user_sgpr_kernarg_segment_ptr 1
		.amdhsa_user_sgpr_dispatch_id 0
		.amdhsa_user_sgpr_flat_scratch_init 0
		.amdhsa_user_sgpr_private_segment_size 0
		.amdhsa_wavefront_size32 1
		.amdhsa_uses_dynamic_stack 0
		.amdhsa_system_sgpr_private_segment_wavefront_offset 0
		.amdhsa_system_sgpr_workgroup_id_x 1
		.amdhsa_system_sgpr_workgroup_id_y 0
		.amdhsa_system_sgpr_workgroup_id_z 0
		.amdhsa_system_sgpr_workgroup_info 0
		.amdhsa_system_vgpr_workitem_id 0
		.amdhsa_next_free_vgpr 179
		.amdhsa_next_free_sgpr 21
		.amdhsa_reserve_vcc 1
		.amdhsa_reserve_flat_scratch 0
		.amdhsa_float_round_mode_32 0
		.amdhsa_float_round_mode_16_64 0
		.amdhsa_float_denorm_mode_32 3
		.amdhsa_float_denorm_mode_16_64 3
		.amdhsa_dx10_clamp 1
		.amdhsa_ieee_mode 1
		.amdhsa_fp16_overflow 0
		.amdhsa_workgroup_processor_mode 1
		.amdhsa_memory_ordered 1
		.amdhsa_forward_progress 0
		.amdhsa_shared_vgpr_count 0
		.amdhsa_exception_fp_ieee_invalid_op 0
		.amdhsa_exception_fp_denorm_src 0
		.amdhsa_exception_fp_ieee_div_zero 0
		.amdhsa_exception_fp_ieee_overflow 0
		.amdhsa_exception_fp_ieee_underflow 0
		.amdhsa_exception_fp_ieee_inexact 0
		.amdhsa_exception_int_div_zero 0
	.end_amdhsa_kernel
	.text
.Lfunc_end0:
	.size	fft_rtc_fwd_len1600_factors_10_16_10_wgs_200_tpt_100_halfLds_dp_ip_CI_unitstride_sbrr_C2R_dirReg, .Lfunc_end0-fft_rtc_fwd_len1600_factors_10_16_10_wgs_200_tpt_100_halfLds_dp_ip_CI_unitstride_sbrr_C2R_dirReg
                                        ; -- End function
	.section	.AMDGPU.csdata,"",@progbits
; Kernel info:
; codeLenInByte = 13080
; NumSgprs: 23
; NumVgprs: 179
; ScratchSize: 0
; MemoryBound: 0
; FloatMode: 240
; IeeeMode: 1
; LDSByteSize: 0 bytes/workgroup (compile time only)
; SGPRBlocks: 2
; VGPRBlocks: 22
; NumSGPRsForWavesPerEU: 23
; NumVGPRsForWavesPerEU: 179
; Occupancy: 5
; WaveLimiterHint : 1
; COMPUTE_PGM_RSRC2:SCRATCH_EN: 0
; COMPUTE_PGM_RSRC2:USER_SGPR: 6
; COMPUTE_PGM_RSRC2:TRAP_HANDLER: 0
; COMPUTE_PGM_RSRC2:TGID_X_EN: 1
; COMPUTE_PGM_RSRC2:TGID_Y_EN: 0
; COMPUTE_PGM_RSRC2:TGID_Z_EN: 0
; COMPUTE_PGM_RSRC2:TIDIG_COMP_CNT: 0
	.text
	.p2alignl 6, 3214868480
	.fill 48, 4, 3214868480
	.type	__hip_cuid_a6ff6d326b8375e0,@object ; @__hip_cuid_a6ff6d326b8375e0
	.section	.bss,"aw",@nobits
	.globl	__hip_cuid_a6ff6d326b8375e0
__hip_cuid_a6ff6d326b8375e0:
	.byte	0                               ; 0x0
	.size	__hip_cuid_a6ff6d326b8375e0, 1

	.ident	"AMD clang version 19.0.0git (https://github.com/RadeonOpenCompute/llvm-project roc-6.4.0 25133 c7fe45cf4b819c5991fe208aaa96edf142730f1d)"
	.section	".note.GNU-stack","",@progbits
	.addrsig
	.addrsig_sym __hip_cuid_a6ff6d326b8375e0
	.amdgpu_metadata
---
amdhsa.kernels:
  - .args:
      - .actual_access:  read_only
        .address_space:  global
        .offset:         0
        .size:           8
        .value_kind:     global_buffer
      - .offset:         8
        .size:           8
        .value_kind:     by_value
      - .actual_access:  read_only
        .address_space:  global
        .offset:         16
        .size:           8
        .value_kind:     global_buffer
      - .actual_access:  read_only
        .address_space:  global
        .offset:         24
        .size:           8
        .value_kind:     global_buffer
      - .offset:         32
        .size:           8
        .value_kind:     by_value
      - .actual_access:  read_only
        .address_space:  global
        .offset:         40
        .size:           8
        .value_kind:     global_buffer
      - .actual_access:  read_only
        .address_space:  global
        .offset:         48
        .size:           8
        .value_kind:     global_buffer
      - .offset:         56
        .size:           4
        .value_kind:     by_value
      - .actual_access:  read_only
        .address_space:  global
        .offset:         64
        .size:           8
        .value_kind:     global_buffer
      - .actual_access:  read_only
        .address_space:  global
        .offset:         72
        .size:           8
        .value_kind:     global_buffer
      - .address_space:  global
        .offset:         80
        .size:           8
        .value_kind:     global_buffer
    .group_segment_fixed_size: 0
    .kernarg_segment_align: 8
    .kernarg_segment_size: 88
    .language:       OpenCL C
    .language_version:
      - 2
      - 0
    .max_flat_workgroup_size: 200
    .name:           fft_rtc_fwd_len1600_factors_10_16_10_wgs_200_tpt_100_halfLds_dp_ip_CI_unitstride_sbrr_C2R_dirReg
    .private_segment_fixed_size: 0
    .sgpr_count:     23
    .sgpr_spill_count: 0
    .symbol:         fft_rtc_fwd_len1600_factors_10_16_10_wgs_200_tpt_100_halfLds_dp_ip_CI_unitstride_sbrr_C2R_dirReg.kd
    .uniform_work_group_size: 1
    .uses_dynamic_stack: false
    .vgpr_count:     179
    .vgpr_spill_count: 0
    .wavefront_size: 32
    .workgroup_processor_mode: 1
amdhsa.target:   amdgcn-amd-amdhsa--gfx1030
amdhsa.version:
  - 1
  - 2
...

	.end_amdgpu_metadata
